;; amdgpu-corpus repo=ROCm/rocFFT kind=compiled arch=gfx1201 opt=O3
	.text
	.amdgcn_target "amdgcn-amd-amdhsa--gfx1201"
	.amdhsa_code_object_version 6
	.protected	bluestein_single_back_len8_dim1_half_op_CI_CI ; -- Begin function bluestein_single_back_len8_dim1_half_op_CI_CI
	.globl	bluestein_single_back_len8_dim1_half_op_CI_CI
	.p2align	8
	.type	bluestein_single_back_len8_dim1_half_op_CI_CI,@function
bluestein_single_back_len8_dim1_half_op_CI_CI: ; @bluestein_single_back_len8_dim1_half_op_CI_CI
; %bb.0:
	s_load_b128 s[4:7], s[0:1], 0x28
	v_lshrrev_b32_e32 v1, 2, v0
	v_mov_b32_e32 v5, 0
	s_mov_b32 s2, exec_lo
	s_delay_alu instid0(VALU_DEP_2) | instskip(SKIP_1) | instid1(VALU_DEP_1)
	v_lshl_or_b32 v4, ttmp9, 4, v1
	s_wait_kmcnt 0x0
	v_cmpx_gt_u64_e64 s[4:5], v[4:5]
	s_cbranch_execz .LBB0_15
; %bb.1:
	s_clause 0x1
	s_load_b64 s[12:13], s[0:1], 0x0
	s_load_b64 s[4:5], s[0:1], 0x38
	v_and_b32_e32 v7, 3, v0
	v_lshlrev_b32_e32 v12, 3, v1
	s_delay_alu instid0(VALU_DEP_2) | instskip(SKIP_1) | instid1(VALU_DEP_3)
	v_cmp_gt_u32_e32 vcc_lo, 2, v7
	v_lshlrev_b32_e32 v11, 2, v7
	v_or_b32_e32 v5, v12, v7
	v_or_b32_e32 v8, 2, v7
	v_add_lshl_u32 v10, v12, v7, 2
	v_or_b32_e32 v9, 6, v7
	s_and_saveexec_b32 s3, vcc_lo
	s_cbranch_execz .LBB0_3
; %bb.2:
	s_load_b64 s[8:9], s[0:1], 0x18
	s_wait_kmcnt 0x0
	s_load_b128 s[8:11], s[8:9], 0x0
	s_wait_kmcnt 0x0
	v_mad_co_u64_u32 v[0:1], null, s10, v4, 0
	v_mad_co_u64_u32 v[2:3], null, s8, v7, 0
	;; [unrolled: 1-line block ×4, first 2 shown]
	s_delay_alu instid0(VALU_DEP_3) | instskip(NEXT) | instid1(VALU_DEP_3)
	v_mad_co_u64_u32 v[17:18], null, s11, v4, v[1:2]
	v_mov_b32_e32 v6, v14
	v_mad_co_u64_u32 v[18:19], null, s9, v7, v[3:4]
	s_delay_alu instid0(VALU_DEP_4) | instskip(NEXT) | instid1(VALU_DEP_3)
	v_mov_b32_e32 v1, v16
	v_mad_co_u64_u32 v[19:20], null, s9, v8, v[6:7]
	s_delay_alu instid0(VALU_DEP_2) | instskip(SKIP_1) | instid1(VALU_DEP_3)
	v_mad_co_u64_u32 v[20:21], null, s9, v9, v[1:2]
	v_mov_b32_e32 v1, v17
	v_dual_mov_b32 v3, v18 :: v_dual_mov_b32 v14, v19
	s_delay_alu instid0(VALU_DEP_2) | instskip(NEXT) | instid1(VALU_DEP_4)
	v_lshlrev_b64_e32 v[0:1], 2, v[0:1]
	v_mov_b32_e32 v16, v20
	s_delay_alu instid0(VALU_DEP_3)
	v_lshlrev_b64_e32 v[2:3], 2, v[2:3]
	s_clause 0x3
	global_load_b32 v18, v11, s[12:13]
	global_load_b32 v19, v11, s[12:13] offset:8
	global_load_b32 v20, v11, s[12:13] offset:16
	;; [unrolled: 1-line block ×3, first 2 shown]
	v_add_co_u32 v6, s2, s6, v0
	s_delay_alu instid0(VALU_DEP_1) | instskip(SKIP_1) | instid1(VALU_DEP_3)
	v_add_co_ci_u32_e64 v17, s2, s7, v1, s2
	v_lshlrev_b64_e32 v[0:1], 2, v[13:14]
	v_add_co_u32 v2, s2, v6, v2
	s_wait_alu 0xf1ff
	s_delay_alu instid0(VALU_DEP_3) | instskip(SKIP_1) | instid1(VALU_DEP_4)
	v_add_co_ci_u32_e64 v3, s2, v17, v3, s2
	v_lshlrev_b64_e32 v[13:14], 2, v[15:16]
	v_add_co_u32 v0, s2, v6, v0
	s_wait_alu 0xf1ff
	v_add_co_ci_u32_e64 v1, s2, v17, v1, s2
	s_lshl_b64 s[6:7], s[8:9], 4
	s_clause 0x1
	global_load_b32 v15, v[2:3], off
	global_load_b32 v16, v[0:1], off
	s_wait_alu 0xfffe
	v_add_co_u32 v0, s2, v2, s6
	s_wait_alu 0xf1ff
	v_add_co_ci_u32_e64 v1, s2, s7, v3, s2
	v_add_co_u32 v2, s2, v6, v13
	s_wait_alu 0xf1ff
	v_add_co_ci_u32_e64 v3, s2, v17, v14, s2
	s_clause 0x1
	global_load_b32 v0, v[0:1], off
	global_load_b32 v1, v[2:3], off
	s_wait_loadcnt 0x7
	v_lshrrev_b32_e32 v2, 16, v18
	s_wait_loadcnt 0x6
	v_lshrrev_b32_e32 v3, 16, v19
	;; [unrolled: 2-line block ×5, first 2 shown]
	v_mul_f16_e32 v14, v2, v15
	s_wait_loadcnt 0x2
	v_lshrrev_b32_e32 v17, 16, v16
	v_mul_f16_e32 v22, v3, v16
	v_mul_f16_e32 v2, v2, v13
	v_fma_f16 v13, v18, v13, -v14
	s_delay_alu instid0(VALU_DEP_4) | instskip(NEXT) | instid1(VALU_DEP_4)
	v_mul_f16_e32 v3, v3, v17
	v_fma_f16 v14, v19, v17, -v22
	s_delay_alu instid0(VALU_DEP_4)
	v_fmac_f16_e32 v2, v18, v15
	s_wait_loadcnt 0x1
	v_lshrrev_b32_e32 v17, 16, v0
	s_wait_loadcnt 0x0
	v_lshrrev_b32_e32 v22, 16, v1
	v_mul_f16_e32 v24, v6, v0
	v_mul_f16_e32 v25, v23, v1
	v_fmac_f16_e32 v3, v19, v16
	v_mul_f16_e32 v6, v6, v17
	v_mul_f16_e32 v15, v23, v22
	v_fma_f16 v16, v20, v17, -v24
	v_fma_f16 v17, v21, v22, -v25
	s_delay_alu instid0(VALU_DEP_4) | instskip(NEXT) | instid1(VALU_DEP_4)
	v_fmac_f16_e32 v6, v20, v0
	v_fmac_f16_e32 v15, v21, v1
	v_lshlrev_b32_e32 v0, 2, v5
	v_pack_b32_f16 v1, v2, v13
	v_pack_b32_f16 v2, v3, v14
	;; [unrolled: 1-line block ×4, first 2 shown]
	ds_store_b32 v0, v1
	ds_store_2addr_b32 v10, v2, v3 offset0:2 offset1:4
	ds_store_b32 v10, v6 offset:24
.LBB0_3:
	s_or_b32 exec_lo, exec_lo, s3
	s_clause 0x1
	s_load_b64 s[2:3], s[0:1], 0x20
	s_load_b64 s[6:7], s[0:1], 0x8
	global_wb scope:SCOPE_SE
	s_wait_dscnt 0x0
	s_wait_kmcnt 0x0
	s_barrier_signal -1
	s_barrier_wait -1
	global_inv scope:SCOPE_SE
                                        ; implicit-def: $vgpr0
                                        ; implicit-def: $vgpr2
	s_and_saveexec_b32 s0, vcc_lo
	s_cbranch_execz .LBB0_5
; %bb.4:
	v_lshlrev_b32_e32 v2, 2, v5
	ds_load_2addr_b32 v[0:1], v2 offset1:2
	ds_load_2addr_b32 v[2:3], v2 offset0:4 offset1:6
.LBB0_5:
	s_wait_alu 0xfffe
	s_or_b32 exec_lo, exec_lo, s0
	s_wait_dscnt 0x0
	v_pk_add_f16 v13, v0, v2 neg_lo:[0,1] neg_hi:[0,1]
	v_pk_add_f16 v2, v1, v3 neg_lo:[0,1] neg_hi:[0,1]
	v_lshlrev_b32_e32 v12, 2, v12
	global_wb scope:SCOPE_SE
	s_barrier_signal -1
	v_pk_fma_f16 v0, v0, 2.0, v13 op_sel_hi:[1,0,1] neg_lo:[0,0,1] neg_hi:[0,0,1]
	v_pk_fma_f16 v1, v1, 2.0, v2 op_sel_hi:[1,0,1] neg_lo:[0,0,1] neg_hi:[0,0,1]
	v_pk_add_f16 v6, v13, v2 op_sel:[0,1] op_sel_hi:[1,0] neg_lo:[0,1] neg_hi:[0,1]
	v_pk_add_f16 v17, v13, v2 op_sel:[0,1] op_sel_hi:[1,0]
	s_barrier_wait -1
	global_inv scope:SCOPE_SE
	v_pk_add_f16 v2, v0, v1 neg_lo:[0,1] neg_hi:[0,1]
	s_and_saveexec_b32 s0, vcc_lo
	s_cbranch_execz .LBB0_7
; %bb.6:
	v_bfi_b32 v3, 0xffff, v6, v17
	v_lshl_or_b32 v14, v7, 4, v12
	v_pk_fma_f16 v0, v0, 2.0, v2 op_sel_hi:[1,0,1] neg_lo:[0,0,1] neg_hi:[0,0,1]
	s_delay_alu instid0(VALU_DEP_3)
	v_pk_fma_f16 v1, v13, 2.0, v3 op_sel_hi:[1,0,1] neg_lo:[0,0,1] neg_hi:[0,0,1]
	ds_store_b128 v14, v[0:3]
.LBB0_7:
	s_wait_alu 0xfffe
	s_or_b32 exec_lo, exec_lo, s0
	s_load_b128 s[0:3], s[2:3], 0x0
	global_wb scope:SCOPE_SE
	s_wait_dscnt 0x0
	s_wait_kmcnt 0x0
	s_barrier_signal -1
	s_barrier_wait -1
	global_inv scope:SCOPE_SE
	global_load_b32 v13, v11, s[6:7]
	v_lshlrev_b32_e32 v3, 2, v5
	ds_load_2addr_b32 v[0:1], v3 offset1:4
	s_wait_dscnt 0x0
	v_lshrrev_b32_e32 v5, 16, v1
	v_lshrrev_b32_e32 v18, 16, v0
	s_wait_loadcnt 0x0
	v_lshrrev_b32_e32 v14, 16, v13
	s_delay_alu instid0(VALU_DEP_1) | instskip(SKIP_1) | instid1(VALU_DEP_2)
	v_mul_f16_e32 v15, v5, v14
	v_mul_f16_e32 v16, v1, v14
	v_fma_f16 v1, v1, v13, -v15
	s_delay_alu instid0(VALU_DEP_2) | instskip(NEXT) | instid1(VALU_DEP_2)
	v_fmac_f16_e32 v16, v5, v13
	v_sub_f16_e32 v1, v0, v1
	s_delay_alu instid0(VALU_DEP_2) | instskip(NEXT) | instid1(VALU_DEP_2)
	v_sub_f16_e32 v15, v18, v16
	v_fma_f16 v0, v0, 2.0, -v1
	s_delay_alu instid0(VALU_DEP_2) | instskip(SKIP_1) | instid1(VALU_DEP_2)
	v_fma_f16 v16, v18, 2.0, -v15
	v_pack_b32_f16 v5, v1, v15
	v_pack_b32_f16 v18, v0, v16
	ds_store_2addr_b32 v3, v18, v5 offset1:4
	global_wb scope:SCOPE_SE
	s_wait_dscnt 0x0
	s_barrier_signal -1
	s_barrier_wait -1
	global_inv scope:SCOPE_SE
	s_and_saveexec_b32 s6, vcc_lo
	s_cbranch_execz .LBB0_9
; %bb.8:
	global_load_b32 v5, v11, s[12:13] offset:32
	s_add_nc_u64 s[8:9], s[12:13], 32
	s_clause 0x2
	global_load_b32 v20, v11, s[8:9] offset:8
	global_load_b32 v21, v11, s[8:9] offset:16
	;; [unrolled: 1-line block ×3, first 2 shown]
	ds_load_b32 v18, v3
	s_wait_dscnt 0x0
	v_lshrrev_b32_e32 v19, 16, v18
	s_wait_loadcnt 0x3
	v_lshrrev_b32_e32 v23, 16, v5
	s_wait_loadcnt 0x0
	v_lshrrev_b32_e32 v25, 16, v22
	s_delay_alu instid0(VALU_DEP_2) | instskip(SKIP_1) | instid1(VALU_DEP_2)
	v_mul_f16_e32 v24, v19, v23
	v_mul_f16_e32 v23, v18, v23
	v_fma_f16 v18, v18, v5, -v24
	s_delay_alu instid0(VALU_DEP_2) | instskip(SKIP_1) | instid1(VALU_DEP_2)
	v_fmac_f16_e32 v23, v19, v5
	v_lshrrev_b32_e32 v24, 16, v21
	v_pack_b32_f16 v5, v18, v23
	v_lshrrev_b32_e32 v23, 16, v20
	ds_store_b32 v3, v5
	ds_load_2addr_b32 v[18:19], v10 offset0:2 offset1:4
	ds_load_b32 v5, v10 offset:24
	s_wait_dscnt 0x1
	v_lshrrev_b32_e32 v26, 16, v18
	v_lshrrev_b32_e32 v28, 16, v19
	s_wait_dscnt 0x0
	v_lshrrev_b32_e32 v30, 16, v5
	v_mul_f16_e32 v27, v18, v23
	v_mul_f16_e32 v29, v19, v24
	;; [unrolled: 1-line block ×6, first 2 shown]
	v_fmac_f16_e32 v27, v26, v20
	v_fmac_f16_e32 v29, v28, v21
	v_fma_f16 v18, v18, v20, -v23
	v_fma_f16 v19, v19, v21, -v24
	v_fmac_f16_e32 v31, v30, v22
	v_fma_f16 v5, v5, v22, -v25
	s_delay_alu instid0(VALU_DEP_4) | instskip(NEXT) | instid1(VALU_DEP_4)
	v_pack_b32_f16 v18, v18, v27
	v_pack_b32_f16 v19, v19, v29
	s_delay_alu instid0(VALU_DEP_3)
	v_pack_b32_f16 v5, v5, v31
	ds_store_2addr_b32 v10, v18, v19 offset0:2 offset1:4
	ds_store_b32 v10, v5 offset:24
.LBB0_9:
	s_wait_alu 0xfffe
	s_or_b32 exec_lo, exec_lo, s6
	v_lshrrev_b32_e32 v17, 16, v17
	global_wb scope:SCOPE_SE
	s_wait_dscnt 0x0
	s_barrier_signal -1
	s_barrier_wait -1
	global_inv scope:SCOPE_SE
	s_and_saveexec_b32 s6, vcc_lo
	s_cbranch_execz .LBB0_11
; %bb.10:
	ds_load_2addr_b32 v[0:1], v3 offset1:2
	ds_load_2addr_b32 v[5:6], v3 offset0:4 offset1:6
	s_wait_dscnt 0x1
	v_lshrrev_b32_e32 v16, 16, v0
	v_lshrrev_b32_e32 v15, 16, v1
	s_wait_dscnt 0x0
	v_lshrrev_b32_e32 v17, 16, v6
	v_mov_b32_e32 v2, v5
.LBB0_11:
	s_wait_alu 0xfffe
	s_or_b32 exec_lo, exec_lo, s6
	global_wb scope:SCOPE_SE
	s_barrier_signal -1
	s_barrier_wait -1
	global_inv scope:SCOPE_SE
	s_and_saveexec_b32 s6, vcc_lo
	s_cbranch_execz .LBB0_13
; %bb.12:
	v_lshrrev_b32_e32 v5, 16, v2
	v_sub_f16_e32 v2, v0, v2
	v_sub_f16_e32 v6, v1, v6
	;; [unrolled: 1-line block ×3, first 2 shown]
	v_lshl_or_b32 v12, v7, 4, v12
	v_sub_f16_e32 v5, v16, v5
	v_fma_f16 v0, v0, 2.0, -v2
	v_fma_f16 v1, v1, 2.0, -v6
	v_fma_f16 v15, v15, 2.0, -v17
	v_add_f16_e32 v17, v17, v2
	v_fma_f16 v16, v16, 2.0, -v5
	v_sub_f16_e32 v6, v5, v6
	v_sub_f16_e32 v1, v0, v1
	s_delay_alu instid0(VALU_DEP_4) | instskip(NEXT) | instid1(VALU_DEP_4)
	v_fma_f16 v2, v2, 2.0, -v17
	v_sub_f16_e32 v15, v16, v15
	s_delay_alu instid0(VALU_DEP_4) | instskip(NEXT) | instid1(VALU_DEP_4)
	v_fma_f16 v5, v5, 2.0, -v6
	v_fma_f16 v0, v0, 2.0, -v1
	v_pack_b32_f16 v18, v17, v6
	s_delay_alu instid0(VALU_DEP_4) | instskip(SKIP_2) | instid1(VALU_DEP_3)
	v_fma_f16 v19, v16, 2.0, -v15
	v_pack_b32_f16 v17, v1, v15
	v_pack_b32_f16 v16, v2, v5
	;; [unrolled: 1-line block ×3, first 2 shown]
	ds_store_b128 v12, v[15:18]
.LBB0_13:
	s_wait_alu 0xfffe
	s_or_b32 exec_lo, exec_lo, s6
	global_wb scope:SCOPE_SE
	s_wait_dscnt 0x0
	s_barrier_signal -1
	s_barrier_wait -1
	global_inv scope:SCOPE_SE
	ds_load_2addr_b32 v[0:1], v3 offset1:4
	s_wait_dscnt 0x0
	v_lshrrev_b32_e32 v2, 16, v1
	v_mul_f16_e32 v5, v14, v1
	v_lshrrev_b32_e32 v12, 16, v0
	s_delay_alu instid0(VALU_DEP_3) | instskip(NEXT) | instid1(VALU_DEP_3)
	v_mul_f16_e32 v6, v14, v2
	v_fma_f16 v2, v13, v2, -v5
	s_delay_alu instid0(VALU_DEP_2) | instskip(NEXT) | instid1(VALU_DEP_2)
	v_fmac_f16_e32 v6, v13, v1
	v_sub_f16_e32 v1, v12, v2
	s_delay_alu instid0(VALU_DEP_2) | instskip(NEXT) | instid1(VALU_DEP_2)
	v_sub_f16_e32 v2, v0, v6
	v_fma_f16 v5, v12, 2.0, -v1
	s_delay_alu instid0(VALU_DEP_2) | instskip(SKIP_1) | instid1(VALU_DEP_2)
	v_fma_f16 v0, v0, 2.0, -v2
	v_pack_b32_f16 v1, v2, v1
	v_pack_b32_f16 v0, v0, v5
	ds_store_2addr_b32 v3, v0, v1 offset1:4
	global_wb scope:SCOPE_SE
	s_wait_dscnt 0x0
	s_barrier_signal -1
	s_barrier_wait -1
	global_inv scope:SCOPE_SE
	s_and_b32 exec_lo, exec_lo, vcc_lo
	s_cbranch_execz .LBB0_15
; %bb.14:
	s_clause 0x3
	global_load_b32 v16, v11, s[12:13]
	global_load_b32 v17, v11, s[12:13] offset:8
	global_load_b32 v18, v11, s[12:13] offset:16
	;; [unrolled: 1-line block ×3, first 2 shown]
	v_mad_co_u64_u32 v[0:1], null, s2, v4, 0
	ds_load_b32 v20, v3
	ds_load_b32 v21, v10 offset:24
	v_mad_co_u64_u32 v[2:3], null, s0, v7, 0
	v_mad_co_u64_u32 v[11:12], null, s0, v8, 0
	;; [unrolled: 1-line block ×3, first 2 shown]
	ds_load_2addr_b32 v[5:6], v10 offset0:2 offset1:4
	s_lshl_b64 s[6:7], s[0:1], 4
	v_mov_b32_e32 v10, v12
	v_mov_b32_e32 v12, v14
	v_mad_co_u64_u32 v[14:15], null, s3, v4, v[1:2]
	v_mad_co_u64_u32 v[3:4], null, s1, v7, v[3:4]
	s_wait_dscnt 0x2
	v_lshrrev_b32_e32 v4, 16, v20
	s_wait_dscnt 0x1
	v_lshrrev_b32_e32 v15, 16, v21
	s_delay_alu instid0(VALU_DEP_4) | instskip(SKIP_2) | instid1(VALU_DEP_3)
	v_mov_b32_e32 v1, v14
	v_mad_co_u64_u32 v[7:8], null, s1, v8, v[10:11]
	v_mad_co_u64_u32 v[8:9], null, s1, v9, v[12:13]
	v_lshlrev_b64_e32 v[0:1], 2, v[0:1]
	v_lshlrev_b64_e32 v[2:3], 2, v[2:3]
	s_wait_dscnt 0x0
	v_lshrrev_b32_e32 v9, 16, v5
	v_lshrrev_b32_e32 v10, 16, v6
	v_mov_b32_e32 v12, v7
	v_mov_b32_e32 v14, v8
	s_delay_alu instid0(VALU_DEP_2) | instskip(SKIP_2) | instid1(VALU_DEP_4)
	v_lshlrev_b64_e32 v[7:8], 2, v[11:12]
	v_add_co_u32 v11, vcc_lo, s4, v0
	v_add_co_ci_u32_e32 v12, vcc_lo, s5, v1, vcc_lo
	v_lshlrev_b64_e32 v[0:1], 2, v[13:14]
	s_delay_alu instid0(VALU_DEP_3) | instskip(SKIP_1) | instid1(VALU_DEP_3)
	v_add_co_u32 v2, vcc_lo, v11, v2
	s_wait_alu 0xfffd
	v_add_co_ci_u32_e32 v3, vcc_lo, v12, v3, vcc_lo
	v_add_co_u32 v7, vcc_lo, v11, v7
	s_wait_alu 0xfffd
	v_add_co_ci_u32_e32 v8, vcc_lo, v12, v8, vcc_lo
	v_add_co_u32 v0, vcc_lo, v11, v0
	s_wait_alu 0xfffd
	v_add_co_ci_u32_e32 v1, vcc_lo, v12, v1, vcc_lo
	s_wait_loadcnt 0x3
	v_lshrrev_b32_e32 v13, 16, v16
	s_wait_loadcnt 0x2
	v_lshrrev_b32_e32 v11, 16, v17
	;; [unrolled: 2-line block ×4, first 2 shown]
	v_mul_f16_e32 v22, v4, v13
	v_mul_f16_e32 v13, v20, v13
	;; [unrolled: 1-line block ×8, first 2 shown]
	v_fmac_f16_e32 v22, v20, v16
	v_fma_f16 v4, v16, v4, -v13
	v_fmac_f16_e32 v23, v5, v17
	v_fma_f16 v5, v17, v9, -v11
	;; [unrolled: 2-line block ×4, first 2 shown]
	v_mul_f16_e32 v10, 0x3000, v22
	v_mul_f16_e32 v4, 0x3000, v4
	;; [unrolled: 1-line block ×8, first 2 shown]
	v_lshlrev_b32_e32 v14, 16, v4
	v_and_b32_e32 v10, 0xffff, v10
	v_lshlrev_b32_e32 v15, 16, v5
	v_and_b32_e32 v11, 0xffff, v11
	v_lshlrev_b32_e32 v9, 16, v9
	v_lshlrev_b32_e32 v6, 16, v6
	v_and_b32_e32 v12, 0xffff, v12
	v_and_b32_e32 v13, 0xffff, v13
	s_wait_alu 0xfffe
	v_add_co_u32 v4, vcc_lo, v2, s6
	v_or_b32_e32 v10, v14, v10
	v_or_b32_e32 v11, v15, v11
	s_wait_alu 0xfffd
	v_add_co_ci_u32_e32 v5, vcc_lo, s7, v3, vcc_lo
	v_or_b32_e32 v6, v6, v12
	v_or_b32_e32 v9, v9, v13
	s_clause 0x3
	global_store_b32 v[2:3], v10, off
	global_store_b32 v[7:8], v11, off
	;; [unrolled: 1-line block ×4, first 2 shown]
.LBB0_15:
	s_nop 0
	s_sendmsg sendmsg(MSG_DEALLOC_VGPRS)
	s_endpgm
	.section	.rodata,"a",@progbits
	.p2align	6, 0x0
	.amdhsa_kernel bluestein_single_back_len8_dim1_half_op_CI_CI
		.amdhsa_group_segment_fixed_size 512
		.amdhsa_private_segment_fixed_size 0
		.amdhsa_kernarg_size 104
		.amdhsa_user_sgpr_count 2
		.amdhsa_user_sgpr_dispatch_ptr 0
		.amdhsa_user_sgpr_queue_ptr 0
		.amdhsa_user_sgpr_kernarg_segment_ptr 1
		.amdhsa_user_sgpr_dispatch_id 0
		.amdhsa_user_sgpr_private_segment_size 0
		.amdhsa_wavefront_size32 1
		.amdhsa_uses_dynamic_stack 0
		.amdhsa_enable_private_segment 0
		.amdhsa_system_sgpr_workgroup_id_x 1
		.amdhsa_system_sgpr_workgroup_id_y 0
		.amdhsa_system_sgpr_workgroup_id_z 0
		.amdhsa_system_sgpr_workgroup_info 0
		.amdhsa_system_vgpr_workitem_id 0
		.amdhsa_next_free_vgpr 32
		.amdhsa_next_free_sgpr 14
		.amdhsa_reserve_vcc 1
		.amdhsa_float_round_mode_32 0
		.amdhsa_float_round_mode_16_64 0
		.amdhsa_float_denorm_mode_32 3
		.amdhsa_float_denorm_mode_16_64 3
		.amdhsa_fp16_overflow 0
		.amdhsa_workgroup_processor_mode 1
		.amdhsa_memory_ordered 1
		.amdhsa_forward_progress 0
		.amdhsa_round_robin_scheduling 0
		.amdhsa_exception_fp_ieee_invalid_op 0
		.amdhsa_exception_fp_denorm_src 0
		.amdhsa_exception_fp_ieee_div_zero 0
		.amdhsa_exception_fp_ieee_overflow 0
		.amdhsa_exception_fp_ieee_underflow 0
		.amdhsa_exception_fp_ieee_inexact 0
		.amdhsa_exception_int_div_zero 0
	.end_amdhsa_kernel
	.text
.Lfunc_end0:
	.size	bluestein_single_back_len8_dim1_half_op_CI_CI, .Lfunc_end0-bluestein_single_back_len8_dim1_half_op_CI_CI
                                        ; -- End function
	.section	.AMDGPU.csdata,"",@progbits
; Kernel info:
; codeLenInByte = 2564
; NumSgprs: 16
; NumVgprs: 32
; ScratchSize: 0
; MemoryBound: 0
; FloatMode: 240
; IeeeMode: 1
; LDSByteSize: 512 bytes/workgroup (compile time only)
; SGPRBlocks: 1
; VGPRBlocks: 3
; NumSGPRsForWavesPerEU: 16
; NumVGPRsForWavesPerEU: 32
; Occupancy: 16
; WaveLimiterHint : 1
; COMPUTE_PGM_RSRC2:SCRATCH_EN: 0
; COMPUTE_PGM_RSRC2:USER_SGPR: 2
; COMPUTE_PGM_RSRC2:TRAP_HANDLER: 0
; COMPUTE_PGM_RSRC2:TGID_X_EN: 1
; COMPUTE_PGM_RSRC2:TGID_Y_EN: 0
; COMPUTE_PGM_RSRC2:TGID_Z_EN: 0
; COMPUTE_PGM_RSRC2:TIDIG_COMP_CNT: 0
	.text
	.p2alignl 7, 3214868480
	.fill 96, 4, 3214868480
	.type	__hip_cuid_582c32ab36229905,@object ; @__hip_cuid_582c32ab36229905
	.section	.bss,"aw",@nobits
	.globl	__hip_cuid_582c32ab36229905
__hip_cuid_582c32ab36229905:
	.byte	0                               ; 0x0
	.size	__hip_cuid_582c32ab36229905, 1

	.ident	"AMD clang version 19.0.0git (https://github.com/RadeonOpenCompute/llvm-project roc-6.4.0 25133 c7fe45cf4b819c5991fe208aaa96edf142730f1d)"
	.section	".note.GNU-stack","",@progbits
	.addrsig
	.addrsig_sym __hip_cuid_582c32ab36229905
	.amdgpu_metadata
---
amdhsa.kernels:
  - .args:
      - .actual_access:  read_only
        .address_space:  global
        .offset:         0
        .size:           8
        .value_kind:     global_buffer
      - .actual_access:  read_only
        .address_space:  global
        .offset:         8
        .size:           8
        .value_kind:     global_buffer
      - .actual_access:  read_only
        .address_space:  global
        .offset:         16
        .size:           8
        .value_kind:     global_buffer
      - .actual_access:  read_only
        .address_space:  global
        .offset:         24
        .size:           8
        .value_kind:     global_buffer
      - .actual_access:  read_only
        .address_space:  global
        .offset:         32
        .size:           8
        .value_kind:     global_buffer
      - .offset:         40
        .size:           8
        .value_kind:     by_value
      - .address_space:  global
        .offset:         48
        .size:           8
        .value_kind:     global_buffer
      - .address_space:  global
        .offset:         56
        .size:           8
        .value_kind:     global_buffer
      - .address_space:  global
        .offset:         64
        .size:           8
        .value_kind:     global_buffer
      - .address_space:  global
        .offset:         72
        .size:           8
        .value_kind:     global_buffer
      - .offset:         80
        .size:           4
        .value_kind:     by_value
      - .address_space:  global
        .offset:         88
        .size:           8
        .value_kind:     global_buffer
      - .address_space:  global
        .offset:         96
        .size:           8
        .value_kind:     global_buffer
    .group_segment_fixed_size: 512
    .kernarg_segment_align: 8
    .kernarg_segment_size: 104
    .language:       OpenCL C
    .language_version:
      - 2
      - 0
    .max_flat_workgroup_size: 64
    .name:           bluestein_single_back_len8_dim1_half_op_CI_CI
    .private_segment_fixed_size: 0
    .sgpr_count:     16
    .sgpr_spill_count: 0
    .symbol:         bluestein_single_back_len8_dim1_half_op_CI_CI.kd
    .uniform_work_group_size: 1
    .uses_dynamic_stack: false
    .vgpr_count:     32
    .vgpr_spill_count: 0
    .wavefront_size: 32
    .workgroup_processor_mode: 1
amdhsa.target:   amdgcn-amd-amdhsa--gfx1201
amdhsa.version:
  - 1
  - 2
...

	.end_amdgpu_metadata
